;; amdgpu-corpus repo=ROCm/rocFFT kind=compiled arch=gfx1201 opt=O3
	.text
	.amdgcn_target "amdgcn-amd-amdhsa--gfx1201"
	.amdhsa_code_object_version 6
	.protected	fft_rtc_back_len165_factors_11_5_3_wgs_55_tpt_11_half_ip_CI_sbrr_dirReg ; -- Begin function fft_rtc_back_len165_factors_11_5_3_wgs_55_tpt_11_half_ip_CI_sbrr_dirReg
	.globl	fft_rtc_back_len165_factors_11_5_3_wgs_55_tpt_11_half_ip_CI_sbrr_dirReg
	.p2align	8
	.type	fft_rtc_back_len165_factors_11_5_3_wgs_55_tpt_11_half_ip_CI_sbrr_dirReg,@function
fft_rtc_back_len165_factors_11_5_3_wgs_55_tpt_11_half_ip_CI_sbrr_dirReg: ; @fft_rtc_back_len165_factors_11_5_3_wgs_55_tpt_11_half_ip_CI_sbrr_dirReg
; %bb.0:
	s_clause 0x1
	s_load_b64 s[12:13], s[0:1], 0x18
	s_load_b128 s[4:7], s[0:1], 0x0
	v_mul_u32_u24_e32 v1, 0x1746, v0
	v_mov_b32_e32 v5, 0
	s_load_b64 s[10:11], s[0:1], 0x50
	s_wait_kmcnt 0x0
	s_load_b64 s[8:9], s[12:13], 0x0
	v_lshrrev_b32_e32 v1, 16, v1
	v_cmp_lt_u64_e64 s2, s[6:7], 2
	s_delay_alu instid0(VALU_DEP_2) | instskip(SKIP_4) | instid1(VALU_DEP_1)
	v_mad_co_u64_u32 v[1:2], null, ttmp9, 5, v[1:2]
	v_mov_b32_e32 v3, 0
	v_mov_b32_e32 v4, 0
	;; [unrolled: 1-line block ×3, first 2 shown]
	s_and_b32 vcc_lo, exec_lo, s2
	v_dual_mov_b32 v10, v2 :: v_dual_mov_b32 v9, v1
	s_cbranch_vccnz .LBB0_8
; %bb.1:
	s_load_b64 s[2:3], s[0:1], 0x10
	v_dual_mov_b32 v3, 0 :: v_dual_mov_b32 v8, v2
	v_dual_mov_b32 v4, 0 :: v_dual_mov_b32 v7, v1
	s_add_nc_u64 s[14:15], s[12:13], 8
	s_mov_b64 s[16:17], 1
	s_wait_kmcnt 0x0
	s_add_nc_u64 s[18:19], s[2:3], 8
	s_mov_b32 s3, 0
.LBB0_2:                                ; =>This Inner Loop Header: Depth=1
	s_load_b64 s[20:21], s[18:19], 0x0
                                        ; implicit-def: $vgpr9_vgpr10
	s_mov_b32 s2, exec_lo
	s_wait_kmcnt 0x0
	v_or_b32_e32 v6, s21, v8
	s_delay_alu instid0(VALU_DEP_1)
	v_cmpx_ne_u64_e32 0, v[5:6]
	s_wait_alu 0xfffe
	s_xor_b32 s22, exec_lo, s2
	s_cbranch_execz .LBB0_4
; %bb.3:                                ;   in Loop: Header=BB0_2 Depth=1
	s_cvt_f32_u32 s2, s20
	s_cvt_f32_u32 s23, s21
	s_sub_nc_u64 s[26:27], 0, s[20:21]
	s_wait_alu 0xfffe
	s_delay_alu instid0(SALU_CYCLE_1) | instskip(SKIP_1) | instid1(SALU_CYCLE_2)
	s_fmamk_f32 s2, s23, 0x4f800000, s2
	s_wait_alu 0xfffe
	v_s_rcp_f32 s2, s2
	s_delay_alu instid0(TRANS32_DEP_1) | instskip(SKIP_1) | instid1(SALU_CYCLE_2)
	s_mul_f32 s2, s2, 0x5f7ffffc
	s_wait_alu 0xfffe
	s_mul_f32 s23, s2, 0x2f800000
	s_wait_alu 0xfffe
	s_delay_alu instid0(SALU_CYCLE_2) | instskip(SKIP_1) | instid1(SALU_CYCLE_2)
	s_trunc_f32 s23, s23
	s_wait_alu 0xfffe
	s_fmamk_f32 s2, s23, 0xcf800000, s2
	s_cvt_u32_f32 s25, s23
	s_wait_alu 0xfffe
	s_delay_alu instid0(SALU_CYCLE_1) | instskip(SKIP_1) | instid1(SALU_CYCLE_2)
	s_cvt_u32_f32 s24, s2
	s_wait_alu 0xfffe
	s_mul_u64 s[28:29], s[26:27], s[24:25]
	s_wait_alu 0xfffe
	s_mul_hi_u32 s31, s24, s29
	s_mul_i32 s30, s24, s29
	s_mul_hi_u32 s2, s24, s28
	s_mul_i32 s33, s25, s28
	s_wait_alu 0xfffe
	s_add_nc_u64 s[30:31], s[2:3], s[30:31]
	s_mul_hi_u32 s23, s25, s28
	s_mul_hi_u32 s34, s25, s29
	s_add_co_u32 s2, s30, s33
	s_wait_alu 0xfffe
	s_add_co_ci_u32 s2, s31, s23
	s_mul_i32 s28, s25, s29
	s_add_co_ci_u32 s29, s34, 0
	s_wait_alu 0xfffe
	s_add_nc_u64 s[28:29], s[2:3], s[28:29]
	s_wait_alu 0xfffe
	v_add_co_u32 v2, s2, s24, s28
	s_delay_alu instid0(VALU_DEP_1) | instskip(SKIP_1) | instid1(VALU_DEP_1)
	s_cmp_lg_u32 s2, 0
	s_add_co_ci_u32 s25, s25, s29
	v_readfirstlane_b32 s24, v2
	s_wait_alu 0xfffe
	s_delay_alu instid0(VALU_DEP_1)
	s_mul_u64 s[26:27], s[26:27], s[24:25]
	s_wait_alu 0xfffe
	s_mul_hi_u32 s29, s24, s27
	s_mul_i32 s28, s24, s27
	s_mul_hi_u32 s2, s24, s26
	s_mul_i32 s30, s25, s26
	s_wait_alu 0xfffe
	s_add_nc_u64 s[28:29], s[2:3], s[28:29]
	s_mul_hi_u32 s23, s25, s26
	s_mul_hi_u32 s24, s25, s27
	s_wait_alu 0xfffe
	s_add_co_u32 s2, s28, s30
	s_add_co_ci_u32 s2, s29, s23
	s_mul_i32 s26, s25, s27
	s_add_co_ci_u32 s27, s24, 0
	s_wait_alu 0xfffe
	s_add_nc_u64 s[26:27], s[2:3], s[26:27]
	s_wait_alu 0xfffe
	v_add_co_u32 v2, s2, v2, s26
	s_delay_alu instid0(VALU_DEP_1) | instskip(SKIP_1) | instid1(VALU_DEP_1)
	s_cmp_lg_u32 s2, 0
	s_add_co_ci_u32 s2, s25, s27
	v_mul_hi_u32 v6, v7, v2
	s_wait_alu 0xfffe
	v_mad_co_u64_u32 v[9:10], null, v7, s2, 0
	v_mad_co_u64_u32 v[11:12], null, v8, v2, 0
	;; [unrolled: 1-line block ×3, first 2 shown]
	s_delay_alu instid0(VALU_DEP_3) | instskip(SKIP_1) | instid1(VALU_DEP_4)
	v_add_co_u32 v2, vcc_lo, v6, v9
	s_wait_alu 0xfffd
	v_add_co_ci_u32_e32 v6, vcc_lo, 0, v10, vcc_lo
	s_delay_alu instid0(VALU_DEP_2) | instskip(SKIP_1) | instid1(VALU_DEP_2)
	v_add_co_u32 v2, vcc_lo, v2, v11
	s_wait_alu 0xfffd
	v_add_co_ci_u32_e32 v2, vcc_lo, v6, v12, vcc_lo
	s_wait_alu 0xfffd
	v_add_co_ci_u32_e32 v6, vcc_lo, 0, v14, vcc_lo
	s_delay_alu instid0(VALU_DEP_2) | instskip(SKIP_1) | instid1(VALU_DEP_2)
	v_add_co_u32 v2, vcc_lo, v2, v13
	s_wait_alu 0xfffd
	v_add_co_ci_u32_e32 v6, vcc_lo, 0, v6, vcc_lo
	s_delay_alu instid0(VALU_DEP_2) | instskip(SKIP_1) | instid1(VALU_DEP_3)
	v_mul_lo_u32 v11, s21, v2
	v_mad_co_u64_u32 v[9:10], null, s20, v2, 0
	v_mul_lo_u32 v12, s20, v6
	s_delay_alu instid0(VALU_DEP_2) | instskip(NEXT) | instid1(VALU_DEP_2)
	v_sub_co_u32 v9, vcc_lo, v7, v9
	v_add3_u32 v10, v10, v12, v11
	s_delay_alu instid0(VALU_DEP_1) | instskip(SKIP_1) | instid1(VALU_DEP_1)
	v_sub_nc_u32_e32 v11, v8, v10
	s_wait_alu 0xfffd
	v_subrev_co_ci_u32_e64 v11, s2, s21, v11, vcc_lo
	v_add_co_u32 v12, s2, v2, 2
	s_wait_alu 0xf1ff
	v_add_co_ci_u32_e64 v13, s2, 0, v6, s2
	v_sub_co_u32 v14, s2, v9, s20
	v_sub_co_ci_u32_e32 v10, vcc_lo, v8, v10, vcc_lo
	s_wait_alu 0xf1ff
	v_subrev_co_ci_u32_e64 v11, s2, 0, v11, s2
	s_delay_alu instid0(VALU_DEP_3) | instskip(NEXT) | instid1(VALU_DEP_3)
	v_cmp_le_u32_e32 vcc_lo, s20, v14
	v_cmp_eq_u32_e64 s2, s21, v10
	s_wait_alu 0xfffd
	v_cndmask_b32_e64 v14, 0, -1, vcc_lo
	v_cmp_le_u32_e32 vcc_lo, s21, v11
	s_wait_alu 0xfffd
	v_cndmask_b32_e64 v15, 0, -1, vcc_lo
	v_cmp_le_u32_e32 vcc_lo, s20, v9
	;; [unrolled: 3-line block ×3, first 2 shown]
	s_wait_alu 0xfffd
	v_cndmask_b32_e64 v16, 0, -1, vcc_lo
	v_cmp_eq_u32_e32 vcc_lo, s21, v11
	s_wait_alu 0xf1ff
	s_delay_alu instid0(VALU_DEP_2)
	v_cndmask_b32_e64 v9, v16, v9, s2
	s_wait_alu 0xfffd
	v_cndmask_b32_e32 v11, v15, v14, vcc_lo
	v_add_co_u32 v14, vcc_lo, v2, 1
	s_wait_alu 0xfffd
	v_add_co_ci_u32_e32 v15, vcc_lo, 0, v6, vcc_lo
	s_delay_alu instid0(VALU_DEP_3) | instskip(SKIP_1) | instid1(VALU_DEP_2)
	v_cmp_ne_u32_e32 vcc_lo, 0, v11
	s_wait_alu 0xfffd
	v_dual_cndmask_b32 v10, v15, v13 :: v_dual_cndmask_b32 v11, v14, v12
	v_cmp_ne_u32_e32 vcc_lo, 0, v9
	s_wait_alu 0xfffd
	s_delay_alu instid0(VALU_DEP_2) | instskip(NEXT) | instid1(VALU_DEP_3)
	v_cndmask_b32_e32 v10, v6, v10, vcc_lo
	v_cndmask_b32_e32 v9, v2, v11, vcc_lo
.LBB0_4:                                ;   in Loop: Header=BB0_2 Depth=1
	s_wait_alu 0xfffe
	s_and_not1_saveexec_b32 s2, s22
	s_cbranch_execz .LBB0_6
; %bb.5:                                ;   in Loop: Header=BB0_2 Depth=1
	v_cvt_f32_u32_e32 v2, s20
	s_sub_co_i32 s22, 0, s20
	s_delay_alu instid0(VALU_DEP_1) | instskip(NEXT) | instid1(TRANS32_DEP_1)
	v_rcp_iflag_f32_e32 v2, v2
	v_mul_f32_e32 v2, 0x4f7ffffe, v2
	s_delay_alu instid0(VALU_DEP_1) | instskip(SKIP_1) | instid1(VALU_DEP_1)
	v_cvt_u32_f32_e32 v2, v2
	s_wait_alu 0xfffe
	v_mul_lo_u32 v6, s22, v2
	s_delay_alu instid0(VALU_DEP_1) | instskip(NEXT) | instid1(VALU_DEP_1)
	v_mul_hi_u32 v6, v2, v6
	v_add_nc_u32_e32 v2, v2, v6
	s_delay_alu instid0(VALU_DEP_1) | instskip(NEXT) | instid1(VALU_DEP_1)
	v_mul_hi_u32 v2, v7, v2
	v_mul_lo_u32 v6, v2, s20
	v_add_nc_u32_e32 v9, 1, v2
	s_delay_alu instid0(VALU_DEP_2) | instskip(NEXT) | instid1(VALU_DEP_1)
	v_sub_nc_u32_e32 v6, v7, v6
	v_subrev_nc_u32_e32 v10, s20, v6
	v_cmp_le_u32_e32 vcc_lo, s20, v6
	s_wait_alu 0xfffd
	s_delay_alu instid0(VALU_DEP_2) | instskip(SKIP_2) | instid1(VALU_DEP_3)
	v_cndmask_b32_e32 v6, v6, v10, vcc_lo
	v_mov_b32_e32 v10, v5
	v_cndmask_b32_e32 v2, v2, v9, vcc_lo
	v_cmp_le_u32_e32 vcc_lo, s20, v6
	s_delay_alu instid0(VALU_DEP_2) | instskip(SKIP_1) | instid1(VALU_DEP_1)
	v_add_nc_u32_e32 v9, 1, v2
	s_wait_alu 0xfffd
	v_cndmask_b32_e32 v9, v2, v9, vcc_lo
.LBB0_6:                                ;   in Loop: Header=BB0_2 Depth=1
	s_wait_alu 0xfffe
	s_or_b32 exec_lo, exec_lo, s2
	s_load_b64 s[22:23], s[14:15], 0x0
	v_mul_lo_u32 v2, v10, s20
	v_mul_lo_u32 v6, v9, s21
	v_mad_co_u64_u32 v[11:12], null, v9, s20, 0
	s_add_nc_u64 s[16:17], s[16:17], 1
	s_add_nc_u64 s[14:15], s[14:15], 8
	s_wait_alu 0xfffe
	v_cmp_ge_u64_e64 s2, s[16:17], s[6:7]
	s_add_nc_u64 s[18:19], s[18:19], 8
	s_delay_alu instid0(VALU_DEP_2) | instskip(NEXT) | instid1(VALU_DEP_3)
	v_add3_u32 v2, v12, v6, v2
	v_sub_co_u32 v6, vcc_lo, v7, v11
	s_wait_alu 0xfffd
	s_delay_alu instid0(VALU_DEP_2) | instskip(SKIP_3) | instid1(VALU_DEP_2)
	v_sub_co_ci_u32_e32 v2, vcc_lo, v8, v2, vcc_lo
	s_and_b32 vcc_lo, exec_lo, s2
	s_wait_kmcnt 0x0
	v_mul_lo_u32 v7, s23, v6
	v_mul_lo_u32 v2, s22, v2
	v_mad_co_u64_u32 v[3:4], null, s22, v6, v[3:4]
	s_delay_alu instid0(VALU_DEP_1)
	v_add3_u32 v4, v7, v4, v2
	s_wait_alu 0xfffe
	s_cbranch_vccnz .LBB0_8
; %bb.7:                                ;   in Loop: Header=BB0_2 Depth=1
	v_dual_mov_b32 v7, v9 :: v_dual_mov_b32 v8, v10
	s_branch .LBB0_2
.LBB0_8:
	s_lshl_b64 s[2:3], s[6:7], 3
	v_mul_hi_u32 v2, 0xcccccccd, v1
	s_wait_alu 0xfffe
	s_add_nc_u64 s[2:3], s[12:13], s[2:3]
	v_mul_hi_u32 v5, 0x1745d175, v0
	s_load_b64 s[2:3], s[2:3], 0x0
	s_load_b64 s[0:1], s[0:1], 0x20
                                        ; implicit-def: $vgpr41
	s_delay_alu instid0(VALU_DEP_2) | instskip(NEXT) | instid1(VALU_DEP_2)
	v_lshrrev_b32_e32 v6, 2, v2
	v_mul_u32_u24_e32 v5, 11, v5
	s_delay_alu instid0(VALU_DEP_1) | instskip(NEXT) | instid1(VALU_DEP_1)
	v_sub_nc_u32_e32 v37, v0, v5
	v_add_nc_u32_e32 v34, 11, v37
	s_wait_kmcnt 0x0
	v_mul_lo_u32 v7, s2, v10
	v_mul_lo_u32 v8, s3, v9
	v_mad_co_u64_u32 v[2:3], null, s2, v9, v[3:4]
	v_lshl_add_u32 v4, v6, 2, v6
	v_cmp_gt_u64_e32 vcc_lo, s[0:1], v[9:10]
	v_cmp_le_u64_e64 s0, s[0:1], v[9:10]
	s_delay_alu instid0(VALU_DEP_3) | instskip(SKIP_1) | instid1(VALU_DEP_3)
	v_sub_nc_u32_e32 v0, v1, v4
	v_add3_u32 v3, v8, v3, v7
	s_and_saveexec_b32 s1, s0
	s_wait_alu 0xfffe
	s_xor_b32 s0, exec_lo, s1
; %bb.9:
	v_add_nc_u32_e32 v41, 11, v37
; %bb.10:
	s_wait_alu 0xfffe
	s_or_saveexec_b32 s1, s0
	v_mul_u32_u24_e32 v0, 0xa5, v0
	v_lshlrev_b64_e32 v[8:9], 2, v[2:3]
	v_lshlrev_b32_e32 v10, 2, v37
	v_add_nc_u32_e32 v36, 22, v37
	v_add_nc_u32_e32 v35, 33, v37
	v_lshlrev_b32_e32 v40, 2, v0
	v_add_nc_u32_e32 v33, 44, v37
	v_add_nc_u32_e32 v32, 55, v37
	;; [unrolled: 1-line block ×11, first 2 shown]
	s_wait_alu 0xfffe
	s_xor_b32 exec_lo, exec_lo, s1
	s_cbranch_execz .LBB0_12
; %bb.11:
	v_mad_co_u64_u32 v[0:1], null, s8, v37, 0
	v_mad_co_u64_u32 v[2:3], null, s8, v34, 0
	;; [unrolled: 1-line block ×5, first 2 shown]
	s_delay_alu instid0(VALU_DEP_4) | instskip(NEXT) | instid1(VALU_DEP_4)
	v_mad_co_u64_u32 v[6:7], null, s9, v37, v[1:2]
	v_mov_b32_e32 v1, v5
	v_mad_co_u64_u32 v[13:14], null, s9, v34, v[3:4]
	v_add_co_u32 v43, s0, s10, v8
	s_delay_alu instid0(VALU_DEP_3)
	v_mad_co_u64_u32 v[14:15], null, s9, v36, v[1:2]
	v_mov_b32_e32 v1, v6
	v_mad_co_u64_u32 v[6:7], null, s8, v33, 0
	v_mov_b32_e32 v3, v13
	;; [unrolled: 2-line block ×3, first 2 shown]
	v_mad_co_u64_u32 v[13:14], null, s8, v32, 0
	v_mad_co_u64_u32 v[15:16], null, s9, v33, v[7:8]
	;; [unrolled: 1-line block ×3, first 2 shown]
	v_lshlrev_b64_e32 v[0:1], 2, v[0:1]
	s_wait_alu 0xf1ff
	v_add_co_ci_u32_e64 v44, s0, s11, v9, s0
	v_lshlrev_b64_e32 v[2:3], 2, v[2:3]
	v_mov_b32_e32 v7, v15
	v_mad_co_u64_u32 v[14:15], null, s9, v32, v[14:15]
	v_mov_b32_e32 v15, v17
	v_mad_co_u64_u32 v[38:39], null, s8, v30, 0
	v_add_co_u32 v0, s0, v43, v0
	s_delay_alu instid0(VALU_DEP_3)
	v_mad_co_u64_u32 v[20:21], null, s9, v31, v[15:16]
	v_mov_b32_e32 v15, v19
	v_lshlrev_b64_e32 v[4:5], 2, v[4:5]
	s_wait_alu 0xf1ff
	v_add_co_ci_u32_e64 v1, s0, v44, v1, s0
	v_add_co_u32 v2, s0, v43, v2
	v_mad_co_u64_u32 v[21:22], null, s9, v29, v[15:16]
	v_mov_b32_e32 v17, v20
	v_lshlrev_b64_e32 v[11:12], 2, v[11:12]
	s_wait_alu 0xf1ff
	v_add_co_ci_u32_e64 v3, s0, v44, v3, s0
	v_add_co_u32 v4, s0, v43, v4
	v_mov_b32_e32 v19, v21
	v_lshlrev_b64_e32 v[15:16], 2, v[16:17]
	v_mov_b32_e32 v17, v39
	v_lshlrev_b64_e32 v[6:7], 2, v[6:7]
	s_wait_alu 0xf1ff
	v_add_co_ci_u32_e64 v5, s0, v44, v5, s0
	v_lshlrev_b64_e32 v[18:19], 2, v[18:19]
	v_add_co_u32 v11, s0, v43, v11
	v_lshlrev_b64_e32 v[13:14], 2, v[13:14]
	s_wait_alu 0xf1ff
	v_add_co_ci_u32_e64 v12, s0, v44, v12, s0
	s_delay_alu instid0(VALU_DEP_4)
	v_mad_co_u64_u32 v[41:42], null, s9, v30, v[17:18]
	v_add_co_u32 v6, s0, v43, v6
	s_wait_alu 0xf1ff
	v_add_co_ci_u32_e64 v7, s0, v44, v7, s0
	v_add_co_u32 v13, s0, v43, v13
	s_wait_alu 0xf1ff
	v_add_co_ci_u32_e64 v14, s0, v44, v14, s0
	v_add_co_u32 v15, s0, v43, v15
	v_mov_b32_e32 v39, v41
	v_mad_co_u64_u32 v[41:42], null, s8, v27, 0
	s_wait_alu 0xf1ff
	v_add_co_ci_u32_e64 v16, s0, v44, v16, s0
	v_add_co_u32 v18, s0, v43, v18
	s_wait_alu 0xf1ff
	v_add_co_ci_u32_e64 v19, s0, v44, v19, s0
	s_clause 0x7
	global_load_b32 v45, v[0:1], off
	global_load_b32 v46, v[2:3], off
	;; [unrolled: 1-line block ×8, first 2 shown]
	v_mad_co_u64_u32 v[3:4], null, s8, v26, 0
	v_mov_b32_e32 v2, v42
	v_mad_co_u64_u32 v[20:21], null, s8, v28, 0
	v_lshlrev_b64_e32 v[0:1], 2, v[38:39]
	s_delay_alu instid0(VALU_DEP_3) | instskip(SKIP_1) | instid1(VALU_DEP_4)
	v_mad_co_u64_u32 v[5:6], null, s9, v27, v[2:3]
	v_mad_co_u64_u32 v[6:7], null, s8, v25, 0
	v_dual_mov_b32 v2, v4 :: v_dual_mov_b32 v17, v21
	s_delay_alu instid0(VALU_DEP_4) | instskip(NEXT) | instid1(VALU_DEP_4)
	v_add_co_u32 v0, s0, v43, v0
	v_mov_b32_e32 v42, v5
	s_delay_alu instid0(VALU_DEP_3) | instskip(SKIP_3) | instid1(VALU_DEP_3)
	v_mad_co_u64_u32 v[13:14], null, s9, v26, v[2:3]
	v_mov_b32_e32 v4, v7
	v_mad_co_u64_u32 v[14:15], null, s8, v24, 0
	v_mad_co_u64_u32 v[21:22], null, s9, v28, v[17:18]
	v_mad_co_u64_u32 v[16:17], null, s9, v25, v[4:5]
	v_mad_co_u64_u32 v[17:18], null, s8, v23, 0
	s_delay_alu instid0(VALU_DEP_4)
	v_mov_b32_e32 v2, v15
	v_mov_b32_e32 v4, v13
	v_lshlrev_b64_e32 v[11:12], 2, v[20:21]
	v_lshlrev_b64_e32 v[19:20], 2, v[41:42]
	v_mov_b32_e32 v7, v16
	v_mad_co_u64_u32 v[15:16], null, s9, v24, v[2:3]
	v_lshlrev_b64_e32 v[3:4], 2, v[3:4]
	v_mov_b32_e32 v2, v18
	s_wait_alu 0xf1ff
	v_add_co_ci_u32_e64 v1, s0, v44, v1, s0
	v_add_co_u32 v11, s0, v43, v11
	s_delay_alu instid0(VALU_DEP_3)
	v_mad_co_u64_u32 v[21:22], null, s9, v23, v[2:3]
	s_wait_alu 0xf1ff
	v_add_co_ci_u32_e64 v12, s0, v44, v12, s0
	v_add_co_u32 v19, s0, v43, v19
	v_lshlrev_b64_e32 v[5:6], 2, v[6:7]
	s_wait_alu 0xf1ff
	v_add_co_ci_u32_e64 v20, s0, v44, v20, s0
	v_mov_b32_e32 v18, v21
	v_add_co_u32 v2, s0, v43, v3
	s_wait_alu 0xf1ff
	v_add_co_ci_u32_e64 v3, s0, v44, v4, s0
	v_lshlrev_b64_e32 v[13:14], 2, v[14:15]
	v_add_co_u32 v4, s0, v43, v5
	s_wait_alu 0xf1ff
	v_add_co_ci_u32_e64 v5, s0, v44, v6, s0
	v_lshlrev_b64_e32 v[6:7], 2, v[17:18]
	s_delay_alu instid0(VALU_DEP_4) | instskip(SKIP_3) | instid1(VALU_DEP_4)
	v_add_co_u32 v13, s0, v43, v13
	s_wait_alu 0xf1ff
	v_add_co_ci_u32_e64 v14, s0, v44, v14, s0
	v_mov_b32_e32 v41, v34
	v_add_co_u32 v6, s0, v43, v6
	s_wait_alu 0xf1ff
	v_add_co_ci_u32_e64 v7, s0, v44, v7, s0
	s_clause 0x6
	global_load_b32 v0, v[0:1], off
	global_load_b32 v1, v[11:12], off
	;; [unrolled: 1-line block ×7, first 2 shown]
	v_add3_u32 v6, 0, v40, v10
	s_wait_loadcnt 0xd
	ds_store_2addr_b32 v6, v45, v46 offset1:11
	s_wait_loadcnt 0xb
	ds_store_2addr_b32 v6, v47, v48 offset0:22 offset1:33
	s_wait_loadcnt 0x9
	ds_store_2addr_b32 v6, v49, v50 offset0:44 offset1:55
	s_wait_loadcnt 0x7
	ds_store_2addr_b32 v6, v51, v52 offset0:66 offset1:77
	s_wait_loadcnt 0x5
	ds_store_2addr_b32 v6, v0, v1 offset0:88 offset1:99
	s_wait_loadcnt 0x3
	ds_store_2addr_b32 v6, v11, v2 offset0:110 offset1:121
	s_wait_loadcnt 0x1
	ds_store_2addr_b32 v6, v3, v4 offset0:132 offset1:143
	s_wait_loadcnt 0x0
	ds_store_b32 v6, v5 offset:616
.LBB0_12:
	s_or_b32 exec_lo, exec_lo, s1
	v_add_nc_u32_e32 v0, 0, v10
	v_add_nc_u32_e32 v6, 0, v40
	global_wb scope:SCOPE_SE
	s_wait_dscnt 0x0
	s_barrier_signal -1
	s_barrier_wait -1
	v_add_nc_u32_e32 v39, v0, v40
	v_add_nc_u32_e32 v38, v6, v10
	global_inv scope:SCOPE_SE
	v_mad_u32_u24 v44, v37, 44, v6
	s_mov_b32 s1, exec_lo
	ds_load_2addr_b32 v[0:1], v39 offset0:11 offset1:15
	ds_load_b32 v43, v38
	ds_load_2addr_b32 v[2:3], v39 offset0:146 offset1:150
	ds_load_2addr_b32 v[19:20], v39 offset0:26 offset1:30
	;; [unrolled: 1-line block ×3, first 2 shown]
	ds_load_b32 v42, v39 offset:644
	ds_load_2addr_b32 v[21:22], v39 offset0:41 offset1:45
	ds_load_2addr_b32 v[17:18], v39 offset0:56 offset1:60
	;; [unrolled: 1-line block ×6, first 2 shown]
	global_wb scope:SCOPE_SE
	s_wait_dscnt 0x0
	s_barrier_signal -1
	s_barrier_wait -1
	global_inv scope:SCOPE_SE
	v_pk_add_f16 v45, v43, v1
	v_pk_add_f16 v46, v3, v1
	v_pk_add_f16 v1, v1, v3 neg_lo:[0,1] neg_hi:[0,1]
	v_pk_add_f16 v48, v5, v20
	v_pk_add_f16 v49, v20, v5 neg_lo:[0,1] neg_hi:[0,1]
	v_pk_add_f16 v20, v45, v20
	v_lshrrev_b32_e32 v51, 16, v46
	v_lshrrev_b32_e32 v50, 16, v1
	v_pk_mul_f16 v45, 0xb853, v1 op_sel_hi:[0,1]
	v_lshrrev_b32_e32 v47, 16, v43
	v_pk_add_f16 v20, v20, v22
	v_mul_f16_e32 v56, 0x36a6, v51
	v_mul_f16_e32 v55, 0xbb47, v50
	;; [unrolled: 1-line block ×4, first 2 shown]
	v_pk_add_f16 v20, v20, v18
	v_mul_f16_e32 v50, 0xba0c, v50
	v_mul_f16_e32 v51, 0xb93d, v51
	v_pk_mul_f16 v52, 0xbb47, v49 op_sel_hi:[0,1]
	v_lshrrev_b32_e32 v53, 16, v49
	v_pk_add_f16 v20, v20, v16
	v_pk_fma_f16 v54, 0x3abb, v46, v45 op_sel:[0,0,1] op_sel_hi:[0,1,0]
	v_pk_fma_f16 v45, 0x3abb, v46, v45 op_sel:[0,0,1] op_sel_hi:[0,1,0] neg_lo:[0,0,1] neg_hi:[0,0,1]
	v_fmamk_f16 v63, v46, 0xb08e, v57
	v_fmamk_f16 v64, v1, 0x3beb, v58
	v_pk_add_f16 v20, v20, v14
	v_fma_f16 v57, v46, 0xb08e, -v57
	v_fmac_f16_e32 v58, 0xbbeb, v1
	v_fmamk_f16 v65, v46, 0xb93d, v50
	v_fmamk_f16 v66, v1, 0x3a0c, v51
	v_pk_add_f16 v20, v20, v12
	v_pk_fma_f16 v59, 0x36a6, v48, v52 op_sel:[0,0,1] op_sel_hi:[0,1,0]
	v_bfi_b32 v60, 0xffff, v54, v45
	v_fmamk_f16 v61, v46, 0x36a6, v55
	v_fmamk_f16 v62, v1, 0x3b47, v56
	v_pk_add_f16 v20, v20, v7
	v_fma_f16 v55, v46, 0x36a6, -v55
	v_fmac_f16_e32 v56, 0xbb47, v1
	v_pk_add_f16 v60, v43, v60
	v_add_f16_e32 v61, v43, v61
	v_pk_add_f16 v5, v20, v5
	v_add_f16_e32 v20, v43, v57
	v_add_f16_e32 v57, v47, v58
	v_add_f16_e32 v58, v43, v65
	v_add_f16_e32 v65, v47, v66
	v_pk_add_f16 v3, v5, v3
	v_pk_fma_f16 v5, 0x36a6, v48, v52 op_sel:[0,0,1] op_sel_hi:[0,1,0] neg_lo:[0,0,1] neg_hi:[0,0,1]
	v_mul_f16_e32 v52, 0xba0c, v53
	v_lshrrev_b32_e32 v66, 16, v48
	v_fmac_f16_e32 v51, 0xba0c, v1
	v_add_f16_e32 v62, v47, v62
	v_bfi_b32 v67, 0xffff, v59, v5
	v_fmamk_f16 v68, v48, 0xb93d, v52
	v_mul_f16_e32 v69, 0xb93d, v66
	v_add_f16_e32 v55, v43, v55
	v_add_f16_e32 v56, v47, v56
	;; [unrolled: 1-line block ×4, first 2 shown]
	v_pk_add_f16 v51, v67, v60
	v_add_f16_e32 v60, v68, v61
	v_fmamk_f16 v61, v49, 0x3a0c, v69
	v_mul_f16_e32 v67, 0x3482, v53
	v_mul_f16_e32 v68, 0xbbad, v66
	v_fma_f16 v52, v48, 0xb93d, -v52
	v_fmac_f16_e32 v69, 0xba0c, v49
	v_add_f16_e32 v63, v43, v63
	v_add_f16_e32 v61, v61, v62
	v_fmamk_f16 v62, v48, 0xbbad, v67
	v_fmamk_f16 v70, v49, 0xb482, v68
	v_add_f16_e32 v52, v52, v55
	v_add_f16_e32 v55, v69, v56
	v_fma_f16 v56, v48, 0xbbad, -v67
	v_add_f16_e32 v62, v62, v63
	v_add_f16_e32 v63, v70, v64
	v_mul_f16_e32 v53, 0x3beb, v53
	v_mul_f16_e32 v64, 0xb08e, v66
	v_add_f16_e32 v20, v56, v20
	v_pk_add_f16 v56, v22, v7 neg_lo:[0,1] neg_hi:[0,1]
	v_fmac_f16_e32 v68, 0x3482, v49
	v_fmamk_f16 v66, v48, 0xb08e, v53
	v_fmamk_f16 v67, v49, 0xbbeb, v64
	v_pk_add_f16 v7, v7, v22
	v_pk_mul_f16 v22, 0xbbeb, v56 op_sel_hi:[0,1]
	v_add_f16_e32 v57, v68, v57
	v_lshrrev_b32_e32 v68, 16, v56
	v_fma_f16 v50, v46, 0xb93d, -v50
	v_add_f16_e32 v58, v66, v58
	v_add_f16_e32 v65, v67, v65
	v_pk_fma_f16 v66, 0xb08e, v7, v22 op_sel:[0,0,1] op_sel_hi:[0,1,0]
	v_pk_fma_f16 v22, 0xb08e, v7, v22 op_sel:[0,0,1] op_sel_hi:[0,1,0] neg_lo:[0,0,1] neg_hi:[0,0,1]
	v_mul_f16_e32 v67, 0x3482, v68
	v_lshrrev_b32_e32 v69, 16, v7
	v_add_f16_e32 v50, v43, v50
	v_fma_f16 v53, v48, 0xb08e, -v53
	v_fmac_f16_e32 v64, 0x3beb, v49
	v_bfi_b32 v70, 0xffff, v66, v22
	v_fmamk_f16 v71, v7, 0xbbad, v67
	v_mul_f16_e32 v72, 0xbbad, v69
	v_add_f16_e32 v50, v53, v50
	v_add_f16_e32 v47, v64, v47
	v_pk_add_f16 v51, v70, v51
	v_add_f16_e32 v53, v71, v60
	v_fmamk_f16 v60, v56, 0xb482, v72
	v_mul_f16_e32 v64, 0x3b47, v68
	v_mul_f16_e32 v70, 0x36a6, v69
	v_fma_f16 v67, v7, 0xbbad, -v67
	v_fmac_f16_e32 v72, 0x3482, v56
	v_add_f16_e32 v60, v60, v61
	v_fmamk_f16 v61, v7, 0x36a6, v64
	v_fmamk_f16 v71, v56, 0xbb47, v70
	v_fma_f16 v64, v7, 0x36a6, -v64
	v_add_f16_e32 v52, v67, v52
	v_mul_f16_e32 v67, 0x3abb, v69
	v_add_f16_e32 v61, v61, v62
	v_add_f16_e32 v62, v71, v63
	v_mul_f16_e32 v63, 0xb853, v68
	v_add_f16_e32 v20, v64, v20
	v_pk_add_f16 v64, v18, v12 neg_lo:[0,1] neg_hi:[0,1]
	v_pk_add_f16 v12, v12, v18
	v_fmac_f16_e32 v70, 0x3b47, v56
	v_fmamk_f16 v68, v7, 0x3abb, v63
	v_fmamk_f16 v69, v56, 0x3853, v67
	v_pk_mul_f16 v18, 0xba0c, v64 op_sel_hi:[0,1]
	v_lshrrev_b32_e32 v71, 16, v12
	v_add_f16_e32 v57, v70, v57
	v_lshrrev_b32_e32 v70, 16, v64
	v_add_f16_e32 v58, v68, v58
	v_pk_fma_f16 v68, 0xb93d, v12, v18 op_sel:[0,0,1] op_sel_hi:[0,1,0]
	v_pk_fma_f16 v18, 0xb93d, v12, v18 op_sel:[0,0,1] op_sel_hi:[0,1,0] neg_lo:[0,0,1] neg_hi:[0,0,1]
	v_fma_f16 v63, v7, 0x3abb, -v63
	v_fmac_f16_e32 v67, 0xb853, v56
	v_mul_f16_e32 v74, 0xb08e, v71
	v_add_f16_e32 v55, v72, v55
	v_add_f16_e32 v65, v69, v65
	v_mul_f16_e32 v69, 0x3beb, v70
	v_bfi_b32 v72, 0xffff, v68, v18
	v_add_f16_e32 v50, v63, v50
	v_add_f16_e32 v47, v67, v47
	v_fmamk_f16 v63, v64, 0xbbeb, v74
	v_mul_f16_e32 v67, 0xb853, v70
	v_fmamk_f16 v73, v12, 0xb08e, v69
	v_pk_add_f16 v51, v72, v51
	v_mul_f16_e32 v72, 0x3abb, v71
	v_fma_f16 v69, v12, 0xb08e, -v69
	v_add_f16_e32 v60, v63, v60
	v_fmamk_f16 v63, v12, 0x3abb, v67
	v_fma_f16 v67, v12, 0x3abb, -v67
	v_add_f16_e32 v53, v73, v53
	v_fmamk_f16 v73, v64, 0x3853, v72
	v_add_f16_e32 v52, v69, v52
	v_add_f16_e32 v61, v63, v61
	v_mul_f16_e32 v63, 0xb482, v70
	v_mul_f16_e32 v69, 0xbbad, v71
	v_add_f16_e32 v20, v67, v20
	v_pk_add_f16 v67, v16, v14 neg_lo:[0,1] neg_hi:[0,1]
	v_fmac_f16_e32 v72, 0xb853, v64
	v_fmamk_f16 v70, v12, 0xbbad, v63
	v_fmamk_f16 v71, v64, 0x3482, v69
	v_pk_add_f16 v14, v14, v16
	v_pk_mul_f16 v16, 0xb482, v67 op_sel_hi:[0,1]
	v_add_f16_e32 v57, v72, v57
	v_lshrrev_b32_e32 v72, 16, v67
	v_fmac_f16_e32 v74, 0x3beb, v64
	v_add_f16_e32 v62, v73, v62
	v_add_f16_e32 v58, v70, v58
	v_add_f16_e32 v65, v71, v65
	v_pk_fma_f16 v70, 0xbbad, v14, v16 op_sel:[0,0,1] op_sel_hi:[0,1,0]
	v_pk_fma_f16 v16, 0xbbad, v14, v16 op_sel:[0,0,1] op_sel_hi:[0,1,0] neg_lo:[0,0,1] neg_hi:[0,0,1]
	v_mul_f16_e32 v71, 0x3853, v72
	v_fma_f16 v63, v12, 0xbbad, -v63
	v_lshrrev_b32_e32 v73, 16, v14
	v_add_f16_e32 v55, v74, v55
	v_fmac_f16_e32 v69, 0xb482, v64
	v_bfi_b32 v74, 0xffff, v70, v16
	v_fmamk_f16 v75, v14, 0x3abb, v71
	v_add_f16_e32 v50, v63, v50
	v_mul_f16_e32 v63, 0x3abb, v73
	v_add_f16_e32 v47, v69, v47
	v_pk_add_f16 v51, v74, v51
	v_add_f16_e32 v53, v75, v53
	v_mul_f16_e32 v69, 0xba0c, v72
	v_fmamk_f16 v74, v67, 0xb853, v63
	v_fma_f16 v71, v14, 0x3abb, -v71
	v_fmac_f16_e32 v63, 0x3853, v67
	v_mul_f16_e32 v75, 0xb93d, v73
	v_fmamk_f16 v76, v14, 0xb93d, v69
	v_fma_f16 v69, v14, 0xb93d, -v69
	v_add_f16_e32 v52, v71, v52
	v_add_f16_e32 v55, v63, v55
	v_fmamk_f16 v63, v67, 0x3a0c, v75
	v_mul_f16_e32 v71, 0x3b47, v72
	v_add_f16_e32 v20, v69, v20
	v_pk_mul_f16 v46, 0xbbad, v46 op_sel_hi:[0,1]
	v_add_f16_e32 v61, v76, v61
	v_add_f16_e32 v62, v63, v62
	v_mul_f16_e32 v63, 0x36a6, v73
	v_fmamk_f16 v69, v14, 0x36a6, v71
	v_pk_mul_f16 v48, 0x3abb, v48 op_sel_hi:[0,1]
	v_add_f16_e32 v60, v74, v60
	v_pack_b32_f16 v61, v61, v62
	v_fmamk_f16 v72, v67, 0xbb47, v63
	v_fmac_f16_e32 v63, 0x3b47, v67
	v_add_f16_e32 v58, v69, v58
	v_pk_fma_f16 v69, 0xb482, v1, v46 op_sel:[0,0,1] op_sel_hi:[0,1,0]
	v_pk_fma_f16 v1, 0xb482, v1, v46 op_sel:[0,0,1] op_sel_hi:[0,1,0] neg_lo:[0,1,0] neg_hi:[0,1,0]
	v_pk_fma_f16 v46, 0x3853, v49, v48 op_sel:[0,0,1] op_sel_hi:[0,1,0]
	v_add_f16_e32 v47, v63, v47
	v_pk_mul_f16 v7, 0xb93d, v7 op_sel_hi:[0,1]
	v_alignbit_b32 v63, s0, v69, 16
	v_alignbit_b32 v62, s0, v43, 16
	v_pack_b32_f16 v53, v53, v60
	v_pk_add_f16 v1, v43, v1 op_sel:[1,0] op_sel_hi:[0,1]
	v_pk_fma_f16 v48, 0x3853, v49, v48 op_sel:[0,0,1] op_sel_hi:[0,1,0] neg_lo:[0,1,0] neg_hi:[0,1,0]
	v_pk_add_f16 v60, v43, v63
	v_alignbit_b32 v63, s0, v46, 16
	v_pk_fma_f16 v49, 0xba0c, v56, v7 op_sel:[0,0,1] op_sel_hi:[0,1,0]
	v_pk_add_f16 v62, v62, v69
	v_pk_mul_f16 v12, 0x36a6, v12 op_sel_hi:[0,1]
	v_bfi_b32 v45, 0xffff, v45, v54
	v_fma_f16 v71, v14, 0x36a6, -v71
	v_pk_add_f16 v60, v63, v60
	v_pk_add_f16 v1, v48, v1
	v_alignbit_b32 v48, s0, v49, 16
	v_pk_fma_f16 v7, 0xba0c, v56, v7 op_sel:[0,0,1] op_sel_hi:[0,1,0] neg_lo:[0,1,0] neg_hi:[0,1,0]
	v_pk_fma_f16 v56, 0x3b47, v64, v12 op_sel:[0,0,1] op_sel_hi:[0,1,0]
	v_pk_add_f16 v46, v46, v62
	v_pk_mul_f16 v14, 0xb08e, v14 op_sel_hi:[0,1]
	v_pk_add_f16 v43, v43, v45
	v_bfi_b32 v5, 0xffff, v5, v59
	v_pk_add_f16 v48, v48, v60
	v_pk_add_f16 v1, v7, v1
	v_alignbit_b32 v7, s0, v56, 16
	v_pk_add_f16 v45, v49, v46
	v_pk_fma_f16 v12, 0x3b47, v64, v12 op_sel:[0,0,1] op_sel_hi:[0,1,0] neg_lo:[0,1,0] neg_hi:[0,1,0]
	v_pk_fma_f16 v46, 0xbbeb, v67, v14 op_sel:[0,0,1] op_sel_hi:[0,1,0]
	v_pk_add_f16 v5, v5, v43
	v_bfi_b32 v22, 0xffff, v22, v66
	v_pk_add_f16 v7, v7, v48
	v_pk_add_f16 v1, v12, v1
	v_pk_fma_f16 v12, 0xbbeb, v67, v14 op_sel:[0,0,1] op_sel_hi:[0,1,0] neg_lo:[0,1,0] neg_hi:[0,1,0]
	v_pk_add_f16 v14, v56, v45
	v_alignbit_b32 v43, s0, v46, 16
	v_fmac_f16_e32 v75, 0xba0c, v67
	v_pk_add_f16 v5, v22, v5
	v_bfi_b32 v18, 0xffff, v18, v68
	v_add_f16_e32 v65, v72, v65
	v_pk_add_f16 v1, v12, v1
	v_pk_add_f16 v12, v46, v14
	;; [unrolled: 1-line block ×3, first 2 shown]
	v_add_f16_e32 v57, v75, v57
	v_add_f16_e32 v50, v71, v50
	v_pk_add_f16 v5, v18, v5
	v_bfi_b32 v16, 0xffff, v16, v70
	v_pack_b32_f16 v14, v58, v65
	v_alignbit_b32 v12, v12, v1, 16
	v_pack_b32_f16 v1, v7, v1
	v_pack_b32_f16 v7, v20, v57
	;; [unrolled: 1-line block ×3, first 2 shown]
	v_pk_add_f16 v5, v16, v5
	v_pack_b32_f16 v16, v52, v55
	ds_store_2addr_b32 v44, v3, v51 offset1:1
	ds_store_2addr_b32 v44, v53, v61 offset0:2 offset1:3
	ds_store_b32 v44, v14 offset:16
	ds_store_2addr_b32 v44, v1, v12 offset0:5 offset1:6
	ds_store_2addr_b32 v44, v18, v7 offset0:7 offset1:8
	;; [unrolled: 1-line block ×3, first 2 shown]
	v_cmpx_gt_u32_e32 4, v37
	s_cbranch_execz .LBB0_14
; %bb.13:
	v_pk_add_f16 v1, v0, v19
	v_pk_add_f16 v5, v42, v19
	v_pk_add_f16 v7, v19, v42 neg_lo:[0,1] neg_hi:[0,1]
	v_pk_add_f16 v12, v2, v21
	v_pk_add_f16 v16, v4, v17
	;; [unrolled: 1-line block ×3, first 2 shown]
	v_pk_add_f16 v18, v17, v4 neg_lo:[0,1] neg_hi:[0,1]
	v_pk_add_f16 v19, v6, v15
	v_pk_add_f16 v14, v21, v2 neg_lo:[0,1] neg_hi:[0,1]
	v_pk_add_f16 v20, v11, v13
	v_pk_add_f16 v1, v1, v17
	v_pk_add_f16 v17, v15, v6 neg_lo:[0,1] neg_hi:[0,1]
	v_pk_add_f16 v21, v13, v11 neg_lo:[0,1] neg_hi:[0,1]
	v_lshrrev_b32_e32 v43, 16, v12
	v_lshrrev_b32_e32 v22, 16, v0
	v_pk_add_f16 v1, v1, v15
	v_lshrrev_b32_e32 v15, 16, v5
	v_lshrrev_b32_e32 v44, 16, v16
	v_mul_f16_e32 v47, 0xb08e, v43
	v_lshrrev_b32_e32 v45, 16, v19
	v_pk_add_f16 v1, v1, v13
	v_mul_f16_e32 v13, 0xb93d, v15
	v_mul_f16_e32 v49, 0x3abb, v44
	v_fmamk_f16 v50, v14, 0xbbeb, v47
	v_lshrrev_b32_e32 v46, 16, v20
	v_pk_add_f16 v1, v1, v11
	v_fmamk_f16 v11, v7, 0x3a0c, v13
	v_lshrrev_b32_e32 v48, 16, v7
	v_mul_f16_e32 v51, 0xbbad, v45
	v_fmamk_f16 v52, v18, 0x3853, v49
	v_pk_add_f16 v1, v1, v6
	v_add_f16_e32 v6, v22, v11
	v_lshrrev_b32_e32 v11, 16, v14
	v_fmamk_f16 v53, v17, 0x3482, v51
	v_lshrrev_b32_e32 v56, 16, v17
	v_pk_add_f16 v1, v1, v4
	v_add_f16_e32 v4, v50, v6
	v_mul_f16_e32 v50, 0xba0c, v48
	v_lshrrev_b32_e32 v6, 16, v18
	v_mul_f16_e32 v54, 0x3beb, v11
	v_pk_add_f16 v1, v1, v2
	v_add_f16_e32 v2, v52, v4
	v_mul_f16_e32 v4, 0x36a6, v46
	v_fmamk_f16 v52, v5, 0xb93d, v50
	v_mul_f16_e32 v55, 0xb853, v6
	v_pk_add_f16 v1, v1, v42
	v_add_f16_e32 v2, v53, v2
	v_fmamk_f16 v42, v21, 0xbb47, v4
	v_add_f16_e32 v52, v0, v52
	v_fmamk_f16 v53, v12, 0xb08e, v54
	v_mul_f16_e32 v57, 0xb482, v56
	v_lshrrev_b32_e32 v58, 16, v21
	v_add_f16_e32 v2, v42, v2
	v_mul_f16_e32 v42, 0xb08e, v15
	v_add_f16_e32 v52, v53, v52
	v_fmamk_f16 v53, v16, 0x3abb, v55
	v_mul_f16_e32 v60, 0xbbad, v43
	v_mul_f16_e32 v61, 0x3b47, v58
	v_fmamk_f16 v59, v7, 0x3beb, v42
	v_mul_f16_e32 v63, 0x36a6, v44
	v_add_f16_e32 v52, v53, v52
	v_fmamk_f16 v53, v19, 0xbbad, v57
	v_fmamk_f16 v62, v14, 0xb482, v60
	v_add_f16_e32 v59, v22, v59
	v_fmac_f16_e32 v13, 0xba0c, v7
	v_mul_f16_e32 v64, 0xbbeb, v48
	v_add_f16_e32 v52, v53, v52
	v_fmamk_f16 v53, v20, 0x36a6, v61
	v_add_f16_e32 v59, v62, v59
	v_fmamk_f16 v62, v18, 0xbb47, v63
	v_mul_f16_e32 v65, 0x3abb, v45
	v_add_f16_e32 v13, v22, v13
	v_fmac_f16_e32 v47, 0x3beb, v14
	v_add_f16_e32 v52, v53, v52
	v_fmamk_f16 v53, v5, 0xb08e, v64
	v_mul_f16_e32 v66, 0x3482, v11
	v_add_f16_e32 v59, v62, v59
	v_fmamk_f16 v62, v17, 0x3853, v65
	v_mul_f16_e32 v67, 0xb93d, v46
	v_fma_f16 v50, v5, 0xb93d, -v50
	v_add_f16_e32 v13, v47, v13
	v_fmac_f16_e32 v49, 0xb853, v18
	v_add_f16_e32 v53, v0, v53
	v_fmamk_f16 v68, v12, 0xbbad, v66
	v_mul_f16_e32 v69, 0x3b47, v6
	v_add_f16_e32 v59, v62, v59
	v_fmamk_f16 v62, v21, 0x3a0c, v67
	v_mul_f16_e32 v15, 0x36a6, v15
	v_add_f16_e32 v50, v0, v50
	v_fma_f16 v54, v12, 0xb08e, -v54
	v_add_f16_e32 v13, v49, v13
	v_fmac_f16_e32 v51, 0xb482, v17
	v_add_f16_e32 v53, v68, v53
	v_fmamk_f16 v68, v16, 0x36a6, v69
	v_mul_f16_e32 v70, 0xb853, v56
	v_add_f16_e32 v59, v62, v59
	v_fmamk_f16 v62, v7, 0x3b47, v15
	v_mul_f16_e32 v43, 0xb93d, v43
	v_add_f16_e32 v49, v54, v50
	;; [unrolled: 10-line block ×3, first 2 shown]
	v_fma_f16 v50, v19, 0xbbad, -v57
	v_add_f16_e32 v4, v4, v13
	v_fma_f16 v13, v5, 0xb08e, -v64
	v_add_f16_e32 v53, v68, v53
	v_fmamk_f16 v68, v20, 0xb93d, v71
	v_mul_f16_e32 v48, 0xbb47, v48
	v_add_f16_e32 v62, v72, v62
	v_fmamk_f16 v72, v18, 0xb482, v44
	v_mul_f16_e32 v45, 0xb08e, v45
	v_add_f16_e32 v49, v50, v49
	v_fma_f16 v50, v20, 0x36a6, -v61
	v_add_f16_e32 v13, v0, v13
	v_fma_f16 v51, v12, 0xbbad, -v66
	v_add_f16_e32 v53, v68, v53
	v_fmamk_f16 v68, v5, 0x36a6, v48
	v_mul_f16_e32 v11, 0xba0c, v11
	v_add_f16_e32 v62, v72, v62
	v_fmamk_f16 v72, v17, 0xbbeb, v45
	v_fmac_f16_e32 v42, 0xbbeb, v7
	v_add_f16_e32 v49, v50, v49
	v_fmac_f16_e32 v15, 0xbb47, v7
	v_add_f16_e32 v13, v51, v13
	v_fma_f16 v50, v16, 0x36a6, -v69
	v_add_f16_e32 v68, v0, v68
	v_fmamk_f16 v73, v12, 0xb93d, v11
	v_mul_f16_e32 v6, 0x3482, v6
	v_add_f16_e32 v62, v72, v62
	v_pk_mul_f16 v72, 0xb853, v7 op_sel_hi:[0,1]
	v_add_f16_e32 v42, v22, v42
	v_add_f16_e32 v15, v22, v15
	;; [unrolled: 1-line block ×3, first 2 shown]
	v_fma_f16 v22, v19, 0x3abb, -v70
	v_fma_f16 v48, v5, 0x36a6, -v48
	v_mul_f16_e32 v46, 0x3abb, v46
	v_add_f16_e32 v68, v73, v68
	v_fmamk_f16 v73, v16, 0xbbad, v6
	v_mul_f16_e32 v56, 0x3beb, v56
	v_pk_fma_f16 v75, 0x3abb, v5, v72 op_sel:[0,0,1] op_sel_hi:[0,1,0]
	v_pk_fma_f16 v72, 0x3abb, v5, v72 op_sel:[0,0,1] op_sel_hi:[0,1,0] neg_lo:[0,0,1] neg_hi:[0,0,1]
	v_pk_mul_f16 v76, 0xbb47, v14 op_sel_hi:[0,1]
	v_fmac_f16_e32 v43, 0xba0c, v14
	v_add_f16_e32 v13, v22, v13
	v_add_f16_e32 v22, v0, v48
	v_fma_f16 v11, v12, 0xb93d, -v11
	v_pk_mul_f16 v5, 0xbbad, v5 op_sel_hi:[0,1]
	v_fmamk_f16 v74, v21, 0xb853, v46
	v_add_f16_e32 v68, v73, v68
	v_fmamk_f16 v73, v19, 0xb08e, v56
	v_mul_f16_e32 v58, 0x3853, v58
	v_bfi_b32 v77, 0xffff, v75, v72
	v_pk_fma_f16 v78, 0x36a6, v12, v76 op_sel:[0,0,1] op_sel_hi:[0,1,0]
	v_pk_fma_f16 v76, 0x36a6, v12, v76 op_sel:[0,0,1] op_sel_hi:[0,1,0] neg_lo:[0,0,1] neg_hi:[0,0,1]
	v_pk_mul_f16 v79, 0xbbeb, v18 op_sel_hi:[0,1]
	v_add_f16_e32 v15, v43, v15
	v_fmac_f16_e32 v44, 0x3482, v18
	v_fma_f16 v43, v20, 0xb93d, -v71
	v_add_f16_e32 v11, v11, v22
	v_fma_f16 v6, v16, 0xbbad, -v6
	v_pk_fma_f16 v22, 0xb482, v7, v5 op_sel:[0,0,1] op_sel_hi:[0,1,0]
	v_pk_mul_f16 v12, 0x3abb, v12 op_sel_hi:[0,1]
	v_add_f16_e32 v68, v73, v68
	v_fmamk_f16 v73, v20, 0x3abb, v58
	v_pk_add_f16 v77, v0, v77
	v_bfi_b32 v80, 0xffff, v78, v76
	v_pk_fma_f16 v81, 0xb08e, v16, v79 op_sel:[0,0,1] op_sel_hi:[0,1,0]
	v_pk_fma_f16 v79, 0xb08e, v16, v79 op_sel:[0,0,1] op_sel_hi:[0,1,0] neg_lo:[0,0,1] neg_hi:[0,0,1]
	v_add_f16_e32 v62, v74, v62
	v_pk_mul_f16 v74, 0xba0c, v17 op_sel_hi:[0,1]
	v_add_f16_e32 v15, v44, v15
	v_fmac_f16_e32 v45, 0x3beb, v17
	v_add_f16_e32 v13, v43, v13
	v_add_f16_e32 v6, v6, v11
	v_fma_f16 v11, v19, 0xb08e, -v56
	v_alignbit_b32 v43, s0, v22, 16
	v_pk_fma_f16 v44, 0x3853, v14, v12 op_sel:[0,0,1] op_sel_hi:[0,1,0]
	v_pk_mul_f16 v16, 0xb93d, v16 op_sel_hi:[0,1]
	v_add_f16_e32 v68, v73, v68
	v_pk_add_f16 v73, v80, v77
	v_pk_fma_f16 v80, 0xb93d, v19, v74 op_sel:[0,0,1] op_sel_hi:[0,1,0]
	v_pk_fma_f16 v74, 0xb93d, v19, v74 op_sel:[0,0,1] op_sel_hi:[0,1,0] neg_lo:[0,0,1] neg_hi:[0,0,1]
	v_add_f16_e32 v15, v45, v15
	v_add_f16_e32 v6, v11, v6
	v_fma_f16 v11, v20, 0x3abb, -v58
	v_pk_add_f16 v43, v0, v43
	v_alignbit_b32 v45, s0, v44, 16
	v_pk_fma_f16 v48, 0xba0c, v18, v16 op_sel:[0,0,1] op_sel_hi:[0,1,0]
	v_pk_mul_f16 v19, 0x36a6, v19 op_sel_hi:[0,1]
	v_fmac_f16_e32 v46, 0x3853, v21
	v_add_f16_e32 v6, v11, v6
	v_pk_add_f16 v11, v45, v43
	v_alignbit_b32 v43, s0, v48, 16
	v_pk_fma_f16 v45, 0x3b47, v17, v19 op_sel:[0,0,1] op_sel_hi:[0,1,0]
	v_add_f16_e32 v15, v46, v15
	v_alignbit_b32 v46, s0, v0, 16
	v_pk_fma_f16 v5, 0xb482, v7, v5 op_sel:[0,0,1] op_sel_hi:[0,1,0] neg_lo:[0,1,0] neg_hi:[0,1,0]
	v_pk_add_f16 v11, v43, v11
	v_alignbit_b32 v43, s0, v45, 16
	v_pk_fma_f16 v12, 0x3853, v14, v12 op_sel:[0,0,1] op_sel_hi:[0,1,0] neg_lo:[0,1,0] neg_hi:[0,1,0]
	v_pk_add_f16 v22, v46, v22
	v_pk_add_f16 v5, v0, v5 op_sel:[1,0] op_sel_hi:[0,1]
	v_fmac_f16_e32 v60, 0x3482, v14
	v_pk_add_f16 v11, v43, v11
	v_bfi_b32 v43, 0xffff, v72, v75
	v_pk_mul_f16 v82, 0xb482, v21 op_sel_hi:[0,1]
	v_pk_add_f16 v22, v44, v22
	v_pk_add_f16 v5, v12, v5
	v_pk_fma_f16 v12, 0xba0c, v18, v16 op_sel:[0,0,1] op_sel_hi:[0,1,0] neg_lo:[0,1,0] neg_hi:[0,1,0]
	v_pk_mul_f16 v16, 0xb08e, v20 op_sel_hi:[0,1]
	v_add_f16_e32 v42, v60, v42
	v_fmac_f16_e32 v63, 0x3b47, v18
	v_bfi_b32 v77, 0xffff, v81, v79
	v_pk_add_f16 v0, v0, v43
	v_bfi_b32 v18, 0xffff, v76, v78
	v_pk_fma_f16 v83, 0xbbad, v20, v82 op_sel:[0,0,1] op_sel_hi:[0,1,0]
	v_pk_fma_f16 v82, 0xbbad, v20, v82 op_sel:[0,0,1] op_sel_hi:[0,1,0] neg_lo:[0,0,1] neg_hi:[0,0,1]
	v_fmac_f16_e32 v65, 0xb853, v17
	v_pk_add_f16 v20, v48, v22
	v_pk_add_f16 v5, v12, v5
	v_pk_fma_f16 v12, 0x3b47, v17, v19 op_sel:[0,0,1] op_sel_hi:[0,1,0] neg_lo:[0,1,0] neg_hi:[0,1,0]
	v_pk_fma_f16 v17, 0xbbeb, v21, v16 op_sel:[0,0,1] op_sel_hi:[0,1,0]
	v_add_f16_e32 v42, v63, v42
	v_pk_add_f16 v73, v77, v73
	v_bfi_b32 v77, 0xffff, v80, v74
	v_pk_add_f16 v0, v18, v0
	v_bfi_b32 v18, 0xffff, v79, v81
	v_pk_add_f16 v19, v45, v20
	v_pk_add_f16 v5, v12, v5
	v_pk_fma_f16 v12, 0xbbeb, v21, v16 op_sel:[0,0,1] op_sel_hi:[0,1,0] neg_lo:[0,1,0] neg_hi:[0,1,0]
	v_alignbit_b32 v16, s0, v17, 16
	v_add_f16_e32 v42, v65, v42
	v_fmac_f16_e32 v67, 0xba0c, v21
	v_mul_i32_i24_e32 v3, 44, v41
	v_pk_add_f16 v47, v77, v73
	v_bfi_b32 v73, 0xffff, v83, v82
	v_pk_add_f16 v0, v18, v0
	v_bfi_b32 v18, 0xffff, v74, v80
	v_pk_add_f16 v17, v17, v19
	v_pk_add_f16 v5, v12, v5
	;; [unrolled: 1-line block ×3, first 2 shown]
	v_add_f16_e32 v42, v67, v42
	v_add3_u32 v3, 0, v3, v40
	v_pk_add_f16 v47, v73, v47
	v_pk_add_f16 v0, v18, v0
	v_bfi_b32 v12, 0xffff, v82, v83
	v_pack_b32_f16 v7, v53, v59
	v_pack_b32_f16 v14, v68, v62
	;; [unrolled: 1-line block ×3, first 2 shown]
	v_alignbit_b32 v16, v17, v5, 16
	v_pack_b32_f16 v5, v11, v5
	v_pack_b32_f16 v11, v13, v42
	;; [unrolled: 1-line block ×3, first 2 shown]
	v_pk_add_f16 v0, v12, v0
	v_pack_b32_f16 v6, v6, v15
	ds_store_2addr_b32 v3, v1, v47 offset1:1
	ds_store_2addr_b32 v3, v14, v7 offset0:2 offset1:3
	ds_store_b32 v3, v2 offset:16
	ds_store_2addr_b32 v3, v5, v16 offset0:5 offset1:6
	ds_store_2addr_b32 v3, v4, v11 offset0:7 offset1:8
	ds_store_2addr_b32 v3, v6, v0 offset0:9 offset1:10
.LBB0_14:
	s_wait_alu 0xfffe
	s_or_b32 exec_lo, exec_lo, s1
	v_mov_b32_e32 v11, 0
	global_wb scope:SCOPE_SE
	s_wait_dscnt 0x0
	s_barrier_signal -1
	s_barrier_wait -1
	global_inv scope:SCOPE_SE
	v_lshlrev_b64_e32 v[0:1], 2, v[10:11]
	v_lshlrev_b32_e32 v14, 2, v41
	v_lshlrev_b32_e32 v10, 1, v37
	s_delay_alu instid0(VALU_DEP_2) | instskip(NEXT) | instid1(VALU_DEP_4)
	v_add3_u32 v14, 0, v14, v40
	v_add_co_u32 v0, s0, s4, v0
	s_wait_alu 0xf1ff
	v_add_co_ci_u32_e64 v1, s0, s5, v1, s0
	global_load_b128 v[4:7], v[0:1], off
	v_and_b32_e32 v0, 0xff, v36
	v_lshlrev_b64_e32 v[46:47], 2, v[10:11]
	v_lshlrev_b32_e32 v10, 1, v41
	s_delay_alu instid0(VALU_DEP_3) | instskip(NEXT) | instid1(VALU_DEP_2)
	v_mul_lo_u16 v0, 0x75, v0
	v_lshlrev_b64_e32 v[48:49], 2, v[10:11]
	v_lshlrev_b32_e32 v10, 1, v36
	v_add_co_u32 v46, s0, s4, v46
	s_delay_alu instid0(VALU_DEP_4)
	v_lshrrev_b16 v0, 8, v0
	s_wait_alu 0xf1ff
	v_add_co_ci_u32_e64 v47, s0, s5, v47, s0
	v_lshlrev_b64_e32 v[50:51], 2, v[10:11]
	v_lshlrev_b32_e32 v10, 1, v35
	v_sub_nc_u16 v1, v36, v0
	v_add_co_u32 v48, s0, s4, v48
	s_wait_alu 0xf1ff
	v_add_co_ci_u32_e64 v49, s0, s5, v49, s0
	s_delay_alu instid0(VALU_DEP_3) | instskip(SKIP_3) | instid1(VALU_DEP_4)
	v_lshrrev_b16 v1, 1, v1
	v_lshlrev_b64_e32 v[52:53], 2, v[10:11]
	v_lshlrev_b32_e32 v10, 1, v33
	v_add_co_u32 v50, s0, s4, v50
	v_and_b32_e32 v1, 0x7f, v1
	s_wait_alu 0xf1ff
	v_add_co_ci_u32_e64 v51, s0, s5, v51, s0
	v_lshlrev_b64_e32 v[10:11], 2, v[10:11]
	v_add_co_u32 v52, s0, s4, v52
	v_add_nc_u16 v0, v1, v0
	s_wait_alu 0xf1ff
	v_add_co_ci_u32_e64 v53, s0, s5, v53, s0
	s_delay_alu instid0(VALU_DEP_2) | instskip(NEXT) | instid1(VALU_DEP_1)
	v_lshrrev_b16 v0, 3, v0
	v_mul_lo_u16 v0, v0, 11
	s_delay_alu instid0(VALU_DEP_1) | instskip(NEXT) | instid1(VALU_DEP_1)
	v_sub_nc_u16 v0, v36, v0
	v_and_b32_e32 v22, 0xff, v0
	s_delay_alu instid0(VALU_DEP_1)
	v_lshlrev_b32_e32 v0, 4, v22
	v_lshlrev_b32_e32 v22, 2, v22
	global_load_b128 v[0:3], v0, s[4:5]
	ds_load_b32 v15, v38
	ds_load_2addr_b32 v[16:17], v39 offset0:66 offset1:77
	ds_load_2addr_b32 v[18:19], v39 offset0:132 offset1:143
	;; [unrolled: 1-line block ×6, first 2 shown]
	ds_load_b32 v41, v14
	ds_load_b32 v54, v39 offset:616
	v_add3_u32 v22, 0, v22, v40
	global_wb scope:SCOPE_SE
	s_wait_loadcnt_dscnt 0x0
	s_barrier_signal -1
	s_barrier_wait -1
	global_inv scope:SCOPE_SE
	v_lshrrev_b32_e32 v55, 16, v15
	v_lshrrev_b32_e32 v58, 16, v17
	;; [unrolled: 1-line block ×19, first 2 shown]
	s_delay_alu instid0(VALU_DEP_4)
	v_mul_f16_e32 v73, v70, v65
	v_mul_f16_e32 v74, v70, v43
	;; [unrolled: 1-line block ×16, first 2 shown]
	v_fmac_f16_e32 v73, v4, v43
	v_fma_f16 v43, v4, v65, -v74
	v_fmac_f16_e32 v75, v5, v16
	v_fma_f16 v16, v5, v66, -v76
	;; [unrolled: 2-line block ×8, first 2 shown]
	v_add_f16_e32 v12, v15, v73
	v_add_f16_e32 v17, v75, v77
	v_sub_f16_e32 v40, v73, v75
	v_sub_f16_e32 v56, v79, v77
	v_add_f16_e32 v57, v73, v79
	v_sub_f16_e32 v58, v75, v73
	v_sub_f16_e32 v59, v77, v79
	v_add_f16_e32 v60, v55, v43
	v_add_f16_e32 v65, v16, v45
	v_sub_f16_e32 v70, v43, v16
	v_sub_f16_e32 v71, v18, v45
	v_add_f16_e32 v76, v82, v83
	v_add_f16_e32 v87, v81, v84
	;; [unrolled: 1-line block ×5, first 2 shown]
	v_sub_f16_e32 v19, v43, v18
	v_sub_f16_e32 v20, v16, v45
	;; [unrolled: 1-line block ×5, first 2 shown]
	v_add_f16_e32 v74, v41, v81
	v_sub_f16_e32 v80, v5, v6
	v_add_f16_e32 v90, v68, v4
	v_sub_f16_e32 v92, v82, v83
	v_add_f16_e32 v12, v12, v75
	v_fma_f16 v17, -0.5, v17, v15
	v_add_f16_e32 v40, v40, v56
	v_fmac_f16_e32 v15, -0.5, v57
	v_add_f16_e32 v56, v58, v59
	v_add_f16_e32 v16, v60, v16
	v_fma_f16 v57, -0.5, v65, v55
	v_add_f16_e32 v58, v70, v71
	v_fma_f16 v60, -0.5, v76, v41
	v_fmac_f16_e32 v41, -0.5, v87
	v_fma_f16 v71, -0.5, v91, v68
	v_fmac_f16_e32 v68, -0.5, v95
	v_sub_f16_e32 v67, v75, v77
	v_fmac_f16_e32 v55, -0.5, v72
	v_sub_f16_e32 v78, v4, v7
	v_sub_f16_e32 v85, v81, v82
	;; [unrolled: 1-line block ×8, first 2 shown]
	v_add_f16_e32 v43, v43, v73
	v_add_f16_e32 v59, v74, v82
	;; [unrolled: 1-line block ×4, first 2 shown]
	v_fmamk_f16 v73, v19, 0xbb9c, v17
	v_add_f16_e32 v16, v16, v45
	v_fmamk_f16 v45, v66, 0x3b9c, v57
	v_fmamk_f16 v77, v80, 0x3b9c, v41
	v_fmac_f16_e32 v41, 0xbb9c, v80
	v_fmamk_f16 v82, v92, 0xbb9c, v68
	v_fmac_f16_e32 v68, 0x3b9c, v92
	;; [unrolled: 2-line block ×4, first 2 shown]
	v_fmac_f16_e32 v17, 0x3b9c, v19
	v_fmac_f16_e32 v57, 0xbb9c, v66
	v_add_f16_e32 v70, v88, v89
	v_add_f16_e32 v4, v4, v96
	;; [unrolled: 1-line block ×4, first 2 shown]
	v_fmac_f16_e32 v73, 0xb8b4, v20
	v_fmac_f16_e32 v45, 0x38b4, v67
	;; [unrolled: 1-line block ×10, first 2 shown]
	v_add_f16_e32 v12, v12, v79
	v_add_f16_e32 v16, v16, v18
	;; [unrolled: 1-line block ×4, first 2 shown]
	v_fmac_f16_e32 v82, 0x38b4, v81
	v_fmac_f16_e32 v73, 0x34f2, v40
	;; [unrolled: 1-line block ×11, first 2 shown]
	v_sub_f16_e32 v94, v7, v6
	v_fmac_f16_e32 v82, 0x34f2, v4
	v_pack_b32_f16 v4, v12, v16
	v_pack_b32_f16 v5, v18, v5
	;; [unrolled: 1-line block ×4, first 2 shown]
	v_lshrrev_b32_e32 v20, 16, v0
	v_lshrrev_b32_e32 v40, 16, v1
	;; [unrolled: 1-line block ×4, first 2 shown]
	v_pack_b32_f16 v12, v74, v75
	v_pack_b32_f16 v15, v15, v55
	;; [unrolled: 1-line block ×3, first 2 shown]
	ds_store_2addr_b32 v39, v4, v7 offset1:11
	ds_store_2addr_b32 v39, v12, v15 offset0:22 offset1:33
	ds_store_2addr_b32 v39, v16, v5 offset0:44 offset1:55
	v_mul_f16_e32 v4, v62, v20
	v_mul_f16_e32 v5, v13, v20
	;; [unrolled: 1-line block ×8, first 2 shown]
	v_fmac_f16_e32 v4, v13, v0
	v_fma_f16 v0, v62, v0, -v5
	v_fmac_f16_e32 v7, v44, v1
	v_fma_f16 v1, v63, v1, -v12
	;; [unrolled: 2-line block ×4, first 2 shown]
	v_add_f16_e32 v3, v42, v4
	v_add_f16_e32 v12, v7, v15
	v_sub_f16_e32 v21, v4, v7
	v_sub_f16_e32 v40, v20, v15
	v_add_f16_e32 v45, v61, v0
	v_add_f16_e32 v54, v1, v2
	;; [unrolled: 1-line block ×4, first 2 shown]
	v_sub_f16_e32 v13, v0, v5
	v_sub_f16_e32 v16, v1, v2
	;; [unrolled: 1-line block ×7, first 2 shown]
	v_add_f16_e32 v3, v3, v7
	v_fma_f16 v7, -0.5, v12, v42
	v_add_f16_e32 v12, v21, v40
	v_add_f16_e32 v1, v45, v1
	v_fma_f16 v40, -0.5, v54, v61
	v_sub_f16_e32 v44, v15, v20
	v_fmac_f16_e32 v42, -0.5, v41
	v_fmac_f16_e32 v61, -0.5, v58
	v_sub_f16_e32 v86, v84, v83
	v_fmamk_f16 v76, v78, 0xbb9c, v60
	v_fmamk_f16 v6, v81, 0x3b9c, v71
	v_fmac_f16_e32 v60, 0x3b9c, v78
	v_fmac_f16_e32 v71, 0xbb9c, v81
	v_sub_f16_e32 v57, v5, v2
	v_sub_f16_e32 v59, v2, v5
	v_add_f16_e32 v3, v3, v15
	v_fmamk_f16 v15, v13, 0xbb9c, v7
	v_add_f16_e32 v1, v1, v2
	v_fmamk_f16 v2, v4, 0x3b9c, v40
	;; [unrolled: 2-line block ×3, first 2 shown]
	v_fmac_f16_e32 v42, 0xbb9c, v16
	v_fmamk_f16 v44, v55, 0xbb9c, v61
	v_fmac_f16_e32 v61, 0x3b9c, v55
	v_fmac_f16_e32 v7, 0x3b9c, v13
	;; [unrolled: 1-line block ×3, first 2 shown]
	v_add_f16_e32 v65, v85, v86
	v_add_f16_e32 v72, v93, v94
	v_fmac_f16_e32 v76, 0xb8b4, v80
	v_fmac_f16_e32 v77, 0xb8b4, v78
	;; [unrolled: 1-line block ×5, first 2 shown]
	v_add_f16_e32 v41, v56, v57
	v_fmac_f16_e32 v15, 0xb8b4, v16
	v_fmac_f16_e32 v2, 0x38b4, v55
	v_add_f16_e32 v0, v0, v59
	v_fmac_f16_e32 v43, 0xb8b4, v13
	v_fmac_f16_e32 v42, 0x38b4, v13
	v_fmac_f16_e32 v44, 0x38b4, v4
	v_fmac_f16_e32 v61, 0xb8b4, v4
	v_fmac_f16_e32 v7, 0x38b4, v16
	v_fmac_f16_e32 v40, 0xb8b4, v55
	v_fmac_f16_e32 v76, 0x34f2, v65
	v_fmac_f16_e32 v77, 0x34f2, v70
	v_fmac_f16_e32 v6, 0x34f2, v72
	v_fmac_f16_e32 v60, 0x34f2, v65
	v_fmac_f16_e32 v71, 0x34f2, v72
	v_add_f16_e32 v3, v3, v20
	v_add_f16_e32 v1, v1, v5
	v_fmac_f16_e32 v15, 0x34f2, v12
	v_fmac_f16_e32 v2, 0x34f2, v41
	;; [unrolled: 1-line block ×8, first 2 shown]
	v_pack_b32_f16 v6, v76, v6
	v_pack_b32_f16 v17, v77, v82
	;; [unrolled: 1-line block ×8, first 2 shown]
	ds_store_2addr_b32 v39, v6, v17 offset0:66 offset1:77
	ds_store_2addr_b32 v39, v18, v19 offset0:88 offset1:99
	;; [unrolled: 1-line block ×4, first 2 shown]
	ds_store_b32 v22, v4 offset:616
	v_add_co_u32 v4, s0, s4, v10
	global_wb scope:SCOPE_SE
	s_wait_dscnt 0x0
	s_barrier_signal -1
	s_barrier_wait -1
	global_inv scope:SCOPE_SE
	s_clause 0x1
	global_load_b64 v[0:1], v[46:47], off offset:176
	global_load_b64 v[2:3], v[48:49], off offset:176
	s_wait_alu 0xf1ff
	v_add_co_ci_u32_e64 v5, s0, s5, v11, s0
	s_clause 0x2
	global_load_b64 v[6:7], v[50:51], off offset:176
	global_load_b64 v[10:11], v[52:53], off offset:176
	;; [unrolled: 1-line block ×3, first 2 shown]
	ds_load_b32 v42, v38
	ds_load_b32 v43, v14
	ds_load_2addr_b32 v[12:13], v39 offset0:22 offset1:33
	ds_load_2addr_b32 v[15:16], v39 offset0:132 offset1:143
	;; [unrolled: 1-line block ×4, first 2 shown]
	ds_load_b32 v44, v39 offset:616
	ds_load_2addr_b32 v[21:22], v39 offset0:110 offset1:121
	ds_load_2addr_b32 v[40:41], v39 offset0:66 offset1:77
	ds_load_u16 v45, v39 offset:310
	global_wb scope:SCOPE_SE
	s_wait_loadcnt_dscnt 0x0
	s_barrier_signal -1
	s_barrier_wait -1
	global_inv scope:SCOPE_SE
	v_lshrrev_b32_e32 v46, 16, v42
	v_lshrrev_b32_e32 v47, 16, v43
	;; [unrolled: 1-line block ×24, first 2 shown]
	v_mul_f16_e32 v70, v60, v56
	v_mul_f16_e32 v60, v60, v20
	;; [unrolled: 1-line block ×20, first 2 shown]
	v_fmac_f16_e32 v70, v0, v20
	v_fma_f16 v0, v0, v56, -v60
	v_fmac_f16_e32 v71, v1, v21
	v_fma_f16 v1, v1, v57, -v61
	;; [unrolled: 2-line block ×10, first 2 shown]
	v_add_f16_e32 v16, v70, v71
	v_sub_f16_e32 v17, v0, v1
	v_add_f16_e32 v18, v46, v0
	v_add_f16_e32 v0, v0, v1
	v_add_f16_e32 v22, v72, v73
	v_sub_f16_e32 v40, v2, v3
	v_add_f16_e32 v41, v47, v2
	v_add_f16_e32 v2, v2, v3
	;; [unrolled: 1-line block ×4, first 2 shown]
	v_sub_f16_e32 v51, v6, v7
	v_add_f16_e32 v52, v48, v6
	v_add_f16_e32 v6, v6, v7
	;; [unrolled: 1-line block ×3, first 2 shown]
	v_sub_f16_e32 v57, v10, v11
	v_add_f16_e32 v58, v50, v10
	v_add_f16_e32 v10, v10, v11
	;; [unrolled: 1-line block ×3, first 2 shown]
	v_sub_f16_e32 v62, v4, v5
	v_add_f16_e32 v63, v53, v4
	v_add_f16_e32 v4, v4, v5
	v_sub_f16_e32 v20, v70, v71
	v_fmac_f16_e32 v42, -0.5, v16
	v_fmac_f16_e32 v46, -0.5, v0
	v_add_f16_e32 v21, v43, v72
	v_add_f16_e32 v55, v13, v76
	v_sub_f16_e32 v44, v72, v73
	v_add_f16_e32 v45, v12, v74
	v_fmac_f16_e32 v43, -0.5, v22
	v_fmac_f16_e32 v47, -0.5, v2
	v_add_f16_e32 v60, v19, v78
	v_sub_f16_e32 v54, v74, v75
	v_sub_f16_e32 v59, v76, v77
	;; [unrolled: 1-line block ×3, first 2 shown]
	v_add_f16_e32 v15, v15, v71
	v_add_f16_e32 v1, v18, v1
	v_fma_f16 v12, -0.5, v49, v12
	v_fmac_f16_e32 v48, -0.5, v6
	v_fmac_f16_e32 v13, -0.5, v56
	;; [unrolled: 1-line block ×5, first 2 shown]
	v_fmamk_f16 v4, v17, 0xbaee, v42
	v_fmamk_f16 v16, v20, 0x3aee, v46
	v_add_f16_e32 v0, v21, v73
	v_add_f16_e32 v3, v41, v3
	;; [unrolled: 1-line block ×4, first 2 shown]
	v_fmac_f16_e32 v42, 0x3aee, v17
	v_fmac_f16_e32 v46, 0xbaee, v20
	v_add_f16_e32 v2, v45, v75
	v_add_f16_e32 v7, v52, v7
	v_fmamk_f16 v17, v40, 0xbaee, v43
	v_fmamk_f16 v18, v44, 0x3aee, v47
	v_add_f16_e32 v10, v60, v79
	v_add_f16_e32 v5, v63, v5
	v_fmac_f16_e32 v43, 0x3aee, v40
	v_fmac_f16_e32 v47, 0xbaee, v44
	v_fmamk_f16 v20, v51, 0xbaee, v12
	v_fmac_f16_e32 v12, 0x3aee, v51
	v_fmamk_f16 v21, v54, 0x3aee, v48
	;; [unrolled: 2-line block ×6, first 2 shown]
	v_fmac_f16_e32 v53, 0xbaee, v64
	v_pack_b32_f16 v1, v15, v1
	v_pack_b32_f16 v4, v4, v16
	;; [unrolled: 1-line block ×15, first 2 shown]
	ds_store_b32 v39, v1
	ds_store_b32 v39, v4 offset:220
	ds_store_b32 v39, v6 offset:440
	ds_store_2addr_b32 v14, v0, v7 offset1:55
	ds_store_b32 v14, v10 offset:440
	ds_store_2addr_b32 v39, v2, v3 offset0:22 offset1:33
	ds_store_2addr_b32 v39, v11, v15 offset0:77 offset1:88
	;; [unrolled: 1-line block ×3, first 2 shown]
	ds_store_b32 v39, v5 offset:176
	ds_store_b32 v39, v16 offset:396
	;; [unrolled: 1-line block ×3, first 2 shown]
	global_wb scope:SCOPE_SE
	s_wait_dscnt 0x0
	s_barrier_signal -1
	s_barrier_wait -1
	global_inv scope:SCOPE_SE
	s_and_saveexec_b32 s0, vcc_lo
	s_cbranch_execz .LBB0_16
; %bb.15:
	v_mad_co_u64_u32 v[0:1], null, s8, v37, 0
	v_mad_co_u64_u32 v[2:3], null, s8, v34, 0
	v_add_co_u32 v20, vcc_lo, s10, v8
	ds_load_2addr_b32 v[7:8], v38 offset1:11
	s_wait_alu 0xfffd
	v_add_co_ci_u32_e32 v21, vcc_lo, s11, v9, vcc_lo
	v_mad_co_u64_u32 v[9:10], null, s8, v35, 0
	v_mad_co_u64_u32 v[4:5], null, s9, v37, v[1:2]
	;; [unrolled: 1-line block ×4, first 2 shown]
	s_delay_alu instid0(VALU_DEP_3) | instskip(SKIP_1) | instid1(VALU_DEP_4)
	v_mov_b32_e32 v1, v4
	v_mad_co_u64_u32 v[3:4], null, s9, v34, v[3:4]
	v_mov_b32_e32 v4, v6
	v_mov_b32_e32 v6, v10
	s_delay_alu instid0(VALU_DEP_4) | instskip(NEXT) | instid1(VALU_DEP_3)
	v_lshlrev_b64_e32 v[0:1], 2, v[0:1]
	v_mad_co_u64_u32 v[13:14], null, s9, v36, v[4:5]
	v_lshlrev_b64_e32 v[2:3], 2, v[2:3]
	s_delay_alu instid0(VALU_DEP_3) | instskip(SKIP_1) | instid1(VALU_DEP_4)
	v_add_co_u32 v0, vcc_lo, v20, v0
	s_wait_alu 0xfffd
	v_add_co_ci_u32_e32 v1, vcc_lo, v21, v1, vcc_lo
	s_wait_dscnt 0x0
	v_mad_co_u64_u32 v[14:15], null, s9, v35, v[6:7]
	v_mov_b32_e32 v6, v13
	global_store_b32 v[0:1], v7, off
	v_add_co_u32 v0, vcc_lo, v20, v2
	s_wait_alu 0xfffd
	v_add_co_ci_u32_e32 v1, vcc_lo, v21, v3, vcc_lo
	ds_load_2addr_b32 v[2:3], v38 offset0:22 offset1:33
	v_mov_b32_e32 v10, v14
	v_lshlrev_b64_e32 v[4:5], 2, v[5:6]
	v_mad_co_u64_u32 v[13:14], null, s8, v32, 0
	v_mov_b32_e32 v6, v12
	s_delay_alu instid0(VALU_DEP_4)
	v_lshlrev_b64_e32 v[9:10], 2, v[9:10]
	global_store_b32 v[0:1], v8, off
	v_add_co_u32 v4, vcc_lo, v20, v4
	s_wait_alu 0xfffd
	v_add_co_ci_u32_e32 v5, vcc_lo, v21, v5, vcc_lo
	v_add_co_u32 v9, vcc_lo, v20, v9
	s_wait_alu 0xfffd
	v_add_co_ci_u32_e32 v10, vcc_lo, v21, v10, vcc_lo
	s_wait_dscnt 0x0
	s_clause 0x1
	global_store_b32 v[4:5], v2, off
	global_store_b32 v[9:10], v3, off
	ds_load_2addr_b32 v[1:2], v38 offset0:44 offset1:55
	v_mad_co_u64_u32 v[6:7], null, s9, v33, v[6:7]
	v_mov_b32_e32 v7, v14
	v_mad_co_u64_u32 v[15:16], null, s8, v31, 0
	s_delay_alu instid0(VALU_DEP_2) | instskip(NEXT) | instid1(VALU_DEP_4)
	v_mad_co_u64_u32 v[17:18], null, s9, v32, v[7:8]
	v_mov_b32_e32 v12, v6
	s_delay_alu instid0(VALU_DEP_3) | instskip(NEXT) | instid1(VALU_DEP_2)
	v_mov_b32_e32 v0, v16
	v_lshlrev_b64_e32 v[3:4], 2, v[11:12]
	s_delay_alu instid0(VALU_DEP_4)
	v_mov_b32_e32 v14, v17
	v_mad_co_u64_u32 v[10:11], null, s8, v30, 0
	s_wait_dscnt 0x0
	v_mad_co_u64_u32 v[5:6], null, s9, v31, v[0:1]
	v_mad_co_u64_u32 v[6:7], null, s8, v29, 0
	v_lshlrev_b64_e32 v[8:9], 2, v[13:14]
	v_add_co_u32 v3, vcc_lo, v20, v3
	s_wait_alu 0xfffd
	v_add_co_ci_u32_e32 v4, vcc_lo, v21, v4, vcc_lo
	v_mov_b32_e32 v16, v5
	v_mov_b32_e32 v0, v7
	v_add_co_u32 v7, vcc_lo, v20, v8
	s_wait_alu 0xfffd
	v_add_co_ci_u32_e32 v8, vcc_lo, v21, v9, vcc_lo
	ds_load_2addr_b32 v[12:13], v38 offset0:66 offset1:77
	s_clause 0x1
	global_store_b32 v[3:4], v1, off
	global_store_b32 v[7:8], v2, off
	v_lshlrev_b64_e32 v[14:15], 2, v[15:16]
	v_mad_co_u64_u32 v[16:17], null, s9, v29, v[0:1]
	ds_load_2addr_b32 v[1:2], v38 offset0:88 offset1:99
	v_mov_b32_e32 v5, v11
	v_add_co_u32 v14, vcc_lo, v20, v14
	s_wait_alu 0xfffd
	v_add_co_ci_u32_e32 v15, vcc_lo, v21, v15, vcc_lo
	s_delay_alu instid0(VALU_DEP_3)
	v_mad_co_u64_u32 v[17:18], null, s9, v30, v[5:6]
	v_mad_co_u64_u32 v[18:19], null, s8, v28, 0
	v_mov_b32_e32 v7, v16
	s_wait_dscnt 0x1
	global_store_b32 v[14:15], v12, off
	v_mov_b32_e32 v11, v17
	v_lshlrev_b64_e32 v[3:4], 2, v[6:7]
	v_mov_b32_e32 v0, v19
	s_delay_alu instid0(VALU_DEP_3) | instskip(SKIP_2) | instid1(VALU_DEP_3)
	v_lshlrev_b64_e32 v[5:6], 2, v[10:11]
	v_mad_co_u64_u32 v[10:11], null, s8, v26, 0
	s_wait_dscnt 0x0
	v_mad_co_u64_u32 v[7:8], null, s9, v28, v[0:1]
	v_mad_co_u64_u32 v[8:9], null, s8, v27, 0
	v_add_co_u32 v3, vcc_lo, v20, v3
	s_wait_alu 0xfffd
	v_add_co_ci_u32_e32 v4, vcc_lo, v21, v4, vcc_lo
	v_add_co_u32 v5, vcc_lo, v20, v5
	s_wait_alu 0xfffd
	v_add_co_ci_u32_e32 v6, vcc_lo, v21, v6, vcc_lo
	v_dual_mov_b32 v19, v7 :: v_dual_mov_b32 v0, v9
	s_clause 0x1
	global_store_b32 v[3:4], v13, off
	global_store_b32 v[5:6], v1, off
	v_mad_co_u64_u32 v[5:6], null, s8, v25, 0
	v_lshlrev_b64_e32 v[3:4], 2, v[18:19]
	v_mad_co_u64_u32 v[0:1], null, s9, v27, v[0:1]
	v_mov_b32_e32 v1, v11
	s_delay_alu instid0(VALU_DEP_3) | instskip(NEXT) | instid1(VALU_DEP_2)
	v_add_co_u32 v3, vcc_lo, v20, v3
	v_mad_co_u64_u32 v[11:12], null, s9, v26, v[1:2]
	v_mov_b32_e32 v1, v6
	s_wait_alu 0xfffd
	v_add_co_ci_u32_e32 v4, vcc_lo, v21, v4, vcc_lo
	v_mov_b32_e32 v9, v0
	v_mad_co_u64_u32 v[12:13], null, s8, v24, 0
	v_mad_co_u64_u32 v[0:1], null, s9, v25, v[1:2]
	global_store_b32 v[3:4], v2, off
	ds_load_2addr_b32 v[1:2], v38 offset0:110 offset1:121
	v_lshlrev_b64_e32 v[3:4], 2, v[8:9]
	v_mad_co_u64_u32 v[8:9], null, s8, v23, 0
	v_dual_mov_b32 v7, v13 :: v_dual_mov_b32 v6, v0
	s_delay_alu instid0(VALU_DEP_3) | instskip(SKIP_1) | instid1(VALU_DEP_4)
	v_add_co_u32 v3, vcc_lo, v20, v3
	s_wait_alu 0xfffd
	v_add_co_ci_u32_e32 v4, vcc_lo, v21, v4, vcc_lo
	s_delay_alu instid0(VALU_DEP_4)
	v_mov_b32_e32 v0, v9
	v_mad_co_u64_u32 v[13:14], null, s9, v24, v[7:8]
	v_lshlrev_b64_e32 v[9:10], 2, v[10:11]
	ds_load_2addr_b32 v[14:15], v38 offset0:132 offset1:143
	v_lshlrev_b64_e32 v[5:6], 2, v[5:6]
	s_wait_dscnt 0x1
	v_mad_co_u64_u32 v[16:17], null, s9, v23, v[0:1]
	ds_load_b32 v0, v38 offset:616
	v_add_co_u32 v17, vcc_lo, v20, v9
	s_wait_alu 0xfffd
	v_add_co_ci_u32_e32 v18, vcc_lo, v21, v10, vcc_lo
	v_lshlrev_b64_e32 v[10:11], 2, v[12:13]
	v_mov_b32_e32 v9, v16
	v_add_co_u32 v5, vcc_lo, v20, v5
	s_wait_alu 0xfffd
	v_add_co_ci_u32_e32 v6, vcc_lo, v21, v6, vcc_lo
	s_delay_alu instid0(VALU_DEP_3) | instskip(SKIP_3) | instid1(VALU_DEP_3)
	v_lshlrev_b64_e32 v[7:8], 2, v[8:9]
	v_add_co_u32 v9, vcc_lo, v20, v10
	s_wait_alu 0xfffd
	v_add_co_ci_u32_e32 v10, vcc_lo, v21, v11, vcc_lo
	v_add_co_u32 v7, vcc_lo, v20, v7
	s_wait_alu 0xfffd
	v_add_co_ci_u32_e32 v8, vcc_lo, v21, v8, vcc_lo
	s_clause 0x1
	global_store_b32 v[3:4], v1, off
	global_store_b32 v[17:18], v2, off
	s_wait_dscnt 0x1
	s_clause 0x1
	global_store_b32 v[5:6], v14, off
	global_store_b32 v[9:10], v15, off
	s_wait_dscnt 0x0
	global_store_b32 v[7:8], v0, off
.LBB0_16:
	s_nop 0
	s_sendmsg sendmsg(MSG_DEALLOC_VGPRS)
	s_endpgm
	.section	.rodata,"a",@progbits
	.p2align	6, 0x0
	.amdhsa_kernel fft_rtc_back_len165_factors_11_5_3_wgs_55_tpt_11_half_ip_CI_sbrr_dirReg
		.amdhsa_group_segment_fixed_size 0
		.amdhsa_private_segment_fixed_size 0
		.amdhsa_kernarg_size 88
		.amdhsa_user_sgpr_count 2
		.amdhsa_user_sgpr_dispatch_ptr 0
		.amdhsa_user_sgpr_queue_ptr 0
		.amdhsa_user_sgpr_kernarg_segment_ptr 1
		.amdhsa_user_sgpr_dispatch_id 0
		.amdhsa_user_sgpr_private_segment_size 0
		.amdhsa_wavefront_size32 1
		.amdhsa_uses_dynamic_stack 0
		.amdhsa_enable_private_segment 0
		.amdhsa_system_sgpr_workgroup_id_x 1
		.amdhsa_system_sgpr_workgroup_id_y 0
		.amdhsa_system_sgpr_workgroup_id_z 0
		.amdhsa_system_sgpr_workgroup_info 0
		.amdhsa_system_vgpr_workitem_id 0
		.amdhsa_next_free_vgpr 97
		.amdhsa_next_free_sgpr 35
		.amdhsa_reserve_vcc 1
		.amdhsa_float_round_mode_32 0
		.amdhsa_float_round_mode_16_64 0
		.amdhsa_float_denorm_mode_32 3
		.amdhsa_float_denorm_mode_16_64 3
		.amdhsa_fp16_overflow 0
		.amdhsa_workgroup_processor_mode 1
		.amdhsa_memory_ordered 1
		.amdhsa_forward_progress 0
		.amdhsa_round_robin_scheduling 0
		.amdhsa_exception_fp_ieee_invalid_op 0
		.amdhsa_exception_fp_denorm_src 0
		.amdhsa_exception_fp_ieee_div_zero 0
		.amdhsa_exception_fp_ieee_overflow 0
		.amdhsa_exception_fp_ieee_underflow 0
		.amdhsa_exception_fp_ieee_inexact 0
		.amdhsa_exception_int_div_zero 0
	.end_amdhsa_kernel
	.text
.Lfunc_end0:
	.size	fft_rtc_back_len165_factors_11_5_3_wgs_55_tpt_11_half_ip_CI_sbrr_dirReg, .Lfunc_end0-fft_rtc_back_len165_factors_11_5_3_wgs_55_tpt_11_half_ip_CI_sbrr_dirReg
                                        ; -- End function
	.section	.AMDGPU.csdata,"",@progbits
; Kernel info:
; codeLenInByte = 10996
; NumSgprs: 37
; NumVgprs: 97
; ScratchSize: 0
; MemoryBound: 0
; FloatMode: 240
; IeeeMode: 1
; LDSByteSize: 0 bytes/workgroup (compile time only)
; SGPRBlocks: 4
; VGPRBlocks: 12
; NumSGPRsForWavesPerEU: 37
; NumVGPRsForWavesPerEU: 97
; Occupancy: 12
; WaveLimiterHint : 1
; COMPUTE_PGM_RSRC2:SCRATCH_EN: 0
; COMPUTE_PGM_RSRC2:USER_SGPR: 2
; COMPUTE_PGM_RSRC2:TRAP_HANDLER: 0
; COMPUTE_PGM_RSRC2:TGID_X_EN: 1
; COMPUTE_PGM_RSRC2:TGID_Y_EN: 0
; COMPUTE_PGM_RSRC2:TGID_Z_EN: 0
; COMPUTE_PGM_RSRC2:TIDIG_COMP_CNT: 0
	.text
	.p2alignl 7, 3214868480
	.fill 96, 4, 3214868480
	.type	__hip_cuid_41c3af6fc5df2730,@object ; @__hip_cuid_41c3af6fc5df2730
	.section	.bss,"aw",@nobits
	.globl	__hip_cuid_41c3af6fc5df2730
__hip_cuid_41c3af6fc5df2730:
	.byte	0                               ; 0x0
	.size	__hip_cuid_41c3af6fc5df2730, 1

	.ident	"AMD clang version 19.0.0git (https://github.com/RadeonOpenCompute/llvm-project roc-6.4.0 25133 c7fe45cf4b819c5991fe208aaa96edf142730f1d)"
	.section	".note.GNU-stack","",@progbits
	.addrsig
	.addrsig_sym __hip_cuid_41c3af6fc5df2730
	.amdgpu_metadata
---
amdhsa.kernels:
  - .args:
      - .actual_access:  read_only
        .address_space:  global
        .offset:         0
        .size:           8
        .value_kind:     global_buffer
      - .offset:         8
        .size:           8
        .value_kind:     by_value
      - .actual_access:  read_only
        .address_space:  global
        .offset:         16
        .size:           8
        .value_kind:     global_buffer
      - .actual_access:  read_only
        .address_space:  global
        .offset:         24
        .size:           8
        .value_kind:     global_buffer
      - .offset:         32
        .size:           8
        .value_kind:     by_value
      - .actual_access:  read_only
        .address_space:  global
        .offset:         40
        .size:           8
        .value_kind:     global_buffer
      - .actual_access:  read_only
        .address_space:  global
        .offset:         48
        .size:           8
        .value_kind:     global_buffer
      - .offset:         56
        .size:           4
        .value_kind:     by_value
      - .actual_access:  read_only
        .address_space:  global
        .offset:         64
        .size:           8
        .value_kind:     global_buffer
      - .actual_access:  read_only
        .address_space:  global
        .offset:         72
        .size:           8
        .value_kind:     global_buffer
      - .address_space:  global
        .offset:         80
        .size:           8
        .value_kind:     global_buffer
    .group_segment_fixed_size: 0
    .kernarg_segment_align: 8
    .kernarg_segment_size: 88
    .language:       OpenCL C
    .language_version:
      - 2
      - 0
    .max_flat_workgroup_size: 55
    .name:           fft_rtc_back_len165_factors_11_5_3_wgs_55_tpt_11_half_ip_CI_sbrr_dirReg
    .private_segment_fixed_size: 0
    .sgpr_count:     37
    .sgpr_spill_count: 0
    .symbol:         fft_rtc_back_len165_factors_11_5_3_wgs_55_tpt_11_half_ip_CI_sbrr_dirReg.kd
    .uniform_work_group_size: 1
    .uses_dynamic_stack: false
    .vgpr_count:     97
    .vgpr_spill_count: 0
    .wavefront_size: 32
    .workgroup_processor_mode: 1
amdhsa.target:   amdgcn-amd-amdhsa--gfx1201
amdhsa.version:
  - 1
  - 2
...

	.end_amdgpu_metadata
